;; amdgpu-corpus repo=triton-lang/triton kind=triton arch=gfx1201 opt=O3 lang=triton
	.amdgcn_target "amdgcn-amd-amdhsa--gfx1201"
	.amdhsa_code_object_version 5
	.text
	.globl	indirect_matmul_kernel          ; -- Begin function indirect_matmul_kernel
	.p2align	8
	.type	indirect_matmul_kernel,@function
indirect_matmul_kernel:                 ; @indirect_matmul_kernel
.Lfunc_begin0:
	.file	1 "/root/src/amdgpu-assembly/repos/triton-lang__triton-aot" "indirect_matmul.py"
	.loc	1 8 0                           ; indirect_matmul.py:8:0
	.cfi_sections .debug_frame
	.cfi_startproc
; %bb.0:
	s_load_b96 s[8:10], s[0:1], 0x30
.Ltmp0:
	.loc	1 42 28 prologue_end            ; indirect_matmul.py:42:28
	s_bfe_u32 s14, ttmp8, 0x50019
	s_delay_alu instid0(SALU_CYCLE_1)
	.loc	1 23 40                         ; indirect_matmul.py:23:40
	s_and_b32 s11, s14, 4
	s_lshl_b32 s15, s14, 5
	.loc	1 33 22                         ; indirect_matmul.py:33:22
	s_or_b32 s2, s11, 8
	s_or_b32 s3, s11, 16
	;; [unrolled: 1-line block ×16, first 2 shown]
	s_wait_kmcnt 0x0
	s_and_b32 s5, s9, 0xffff
	s_or_b32 s25, s11, 0x88
	s_or_b32 s26, s11, 0x90
	;; [unrolled: 1-line block ×15, first 2 shown]
	.loc	1 32 25                         ; indirect_matmul.py:32:25
	s_cmp_gt_i32 s10, 0
	.loc	1 23 40                         ; indirect_matmul.py:23:40
	v_and_or_b32 v75, v0, 31, s15
	.loc	1 32 25                         ; indirect_matmul.py:32:25
	s_cselect_b32 s46, -1, 0
	s_delay_alu instid0(SALU_CYCLE_1)
	.loc	1 33 22                         ; indirect_matmul.py:33:22
	s_and_b32 s41, s46, exec_lo
	s_cselect_b32 s41, s11, 0x80000000
	s_cselect_b32 s2, s2, 0x80000000
	;; [unrolled: 1-line block ×3, first 2 shown]
	v_dual_mov_b32 v1, s41 :: v_dual_mov_b32 v2, s2
	s_cselect_b32 s42, s4, 0x80000000
	s_cselect_b32 s43, s6, 0x80000000
	;; [unrolled: 1-line block ×5, first 2 shown]
	v_dual_mov_b32 v3, s3 :: v_dual_mov_b32 v4, s42
	s_cselect_b32 s16, s16, 0x80000000
	s_mov_b32 s7, 0x31027000
	s_mov_b32 s6, 0x7ffffffe
	;; [unrolled: 1-line block ×3, first 2 shown]
	s_cselect_b32 s17, s17, 0x80000000
	v_dual_mov_b32 v5, s43 :: v_dual_mov_b32 v6, s44
	v_dual_mov_b32 v7, s12 :: v_dual_mov_b32 v8, s13
	s_cselect_b32 s18, s18, 0x80000000
	s_clause 0x7
	buffer_load_b32 v9, v1, s[4:7], null offen
	buffer_load_b32 v2, v2, s[4:7], null offen
	;; [unrolled: 1-line block ×8, first 2 shown]
	v_dual_mov_b32 v1, s16 :: v_dual_mov_b32 v10, s17
	s_cselect_b32 s19, s19, 0x80000000
	s_cselect_b32 s20, s20, 0x80000000
	;; [unrolled: 1-line block ×5, first 2 shown]
	v_dual_mov_b32 v11, s18 :: v_dual_mov_b32 v12, s19
	s_cselect_b32 s24, s24, 0x80000000
	s_cselect_b32 s25, s25, 0x80000000
	v_dual_mov_b32 v13, s20 :: v_dual_mov_b32 v14, s21
	v_dual_mov_b32 v15, s22 :: v_dual_mov_b32 v16, s23
	s_cselect_b32 s26, s26, 0x80000000
	s_clause 0x7
	buffer_load_b32 v17, v1, s[4:7], null offen
	buffer_load_b32 v10, v10, s[4:7], null offen
	buffer_load_b32 v11, v11, s[4:7], null offen
	buffer_load_b32 v12, v12, s[4:7], null offen
	buffer_load_b32 v13, v13, s[4:7], null offen
	buffer_load_b32 v14, v14, s[4:7], null offen
	buffer_load_b32 v15, v15, s[4:7], null offen
	buffer_load_b32 v16, v16, s[4:7], null offen
	v_dual_mov_b32 v1, s24 :: v_dual_mov_b32 v18, s25
	s_cselect_b32 s27, s27, 0x80000000
	s_cselect_b32 s28, s28, 0x80000000
	;; [unrolled: 1-line block ×5, first 2 shown]
	v_dual_mov_b32 v19, s26 :: v_dual_mov_b32 v20, s27
	s_cselect_b32 s33, s33, 0x80000000
	s_cselect_b32 s34, s34, 0x80000000
	v_dual_mov_b32 v21, s28 :: v_dual_mov_b32 v22, s29
	v_dual_mov_b32 v23, s30 :: v_dual_mov_b32 v24, s31
	s_cselect_b32 s35, s35, 0x80000000
	s_clause 0x7
	buffer_load_b32 v25, v1, s[4:7], null offen
	buffer_load_b32 v18, v18, s[4:7], null offen
	;; [unrolled: 1-line block ×8, first 2 shown]
	v_dual_mov_b32 v1, s33 :: v_dual_mov_b32 v26, s34
	s_cselect_b32 s36, s36, 0x80000000
	s_cselect_b32 s37, s37, 0x80000000
	;; [unrolled: 1-line block ×5, first 2 shown]
	v_dual_mov_b32 v27, s35 :: v_dual_mov_b32 v28, s36
	v_dual_mov_b32 v29, s37 :: v_dual_mov_b32 v30, s38
	s_wait_alu depctr_sa_sdst(0)
	v_dual_mov_b32 v31, s39 :: v_dual_mov_b32 v32, s40
	s_clause 0x7
	buffer_load_b32 v34, v1, s[4:7], null offen
	buffer_load_b32 v26, v26, s[4:7], null offen
	;; [unrolled: 1-line block ×8, first 2 shown]
	s_load_b96 s[4:6], s[0:1], 0x10
	.loc	1 25 26                         ; indirect_matmul.py:25:26
	v_and_b32_e32 v1, 0x7f, v75
	.loc	1 32 25                         ; indirect_matmul.py:32:25
	s_cmp_lt_i32 s10, 1
	.loc	1 33 22                         ; indirect_matmul.py:33:22
	s_wait_loadcnt 0x1f
	v_readfirstlane_b32 s45, v9
	s_wait_loadcnt 0x1e
	v_readfirstlane_b32 s44, v2
	v_dual_mov_b32 v2, 0 :: v_dual_lshlrev_b32 v33, 1, v1
	.loc	1 28 17                         ; indirect_matmul.py:28:17
	v_mov_b32_e32 v1, 0
	.loc	1 33 22                         ; indirect_matmul.py:33:22
	s_wait_loadcnt 0x1d
	v_readfirstlane_b32 s43, v3
	s_wait_loadcnt 0x1c
	v_readfirstlane_b32 s42, v4
	;; [unrolled: 2-line block ×3, first 2 shown]
	.loc	1 28 17                         ; indirect_matmul.py:28:17
	s_wait_kmcnt 0x0
	v_add_co_u32 v76, s2, s4, v33
	s_wait_alu depctr_va_sdst(0)
	v_add_co_ci_u32_e64 v77, null, s5, 0, s2
	.loc	1 33 22                         ; indirect_matmul.py:33:22
	s_wait_loadcnt 0x1a
	v_readfirstlane_b32 s40, v6
	s_wait_loadcnt 0x19
	v_readfirstlane_b32 s39, v7
	;; [unrolled: 2-line block ×27, first 2 shown]
	.loc	1 35 20                         ; indirect_matmul.py:35:20
	s_cbranch_scc1 .LBB0_2
; %bb.1:
	.loc	1 0 20 is_stmt 0                ; indirect_matmul.py:0:20
	s_mul_i32 s4, s45, s6
	s_wait_alu depctr_sa_sdst(0)
	s_ashr_i32 s5, s4, 31
	s_wait_alu depctr_sa_sdst(0)
	s_lshl_b64 s[4:5], s[4:5], 1
	s_wait_alu depctr_sa_sdst(0)
	v_add_co_u32 v2, vcc_lo, v76, s4
	s_delay_alu instid0(VALU_DEP_1)
	v_add_co_ci_u32_e64 v3, null, s5, v77, vcc_lo
	.loc	1 35 20                         ; indirect_matmul.py:35:20
	global_load_u16 v2, v[2:3], off
.LBB0_2:
	v_cndmask_b32_e64 v3, 0, 1, s46
	s_and_not1_b32 vcc_lo, exec_lo, s46
	s_delay_alu instid0(VALU_DEP_1)
	v_cmp_ne_u32_e64 s2, 1, v3
	s_wait_alu depctr_sa_sdst(0)
	s_cbranch_vccnz .LBB0_4
; %bb.3:
	.loc	1 35 44                         ; indirect_matmul.py:35:44
	s_mul_i32 s4, s44, s6
	.loc	1 35 29                         ; indirect_matmul.py:35:29
	s_wait_alu depctr_sa_sdst(0)
	s_ashr_i32 s5, s4, 31
	s_wait_alu depctr_sa_sdst(0)
	s_lshl_b64 s[4:5], s[4:5], 1
	s_wait_alu depctr_sa_sdst(0)
	v_add_co_u32 v3, vcc_lo, v76, s4
	s_wait_alu depctr_va_vcc(0)
	v_add_co_ci_u32_e64 v4, null, s5, v77, vcc_lo
	.loc	1 35 20                         ; indirect_matmul.py:35:20
	global_load_u16 v1, v[3:4], off
.LBB0_4:
	.loc	1 0 20                          ; indirect_matmul.py:0:20
	v_dual_mov_b32 v3, 0 :: v_dual_mov_b32 v4, 0
	.loc	1 35 20                         ; indirect_matmul.py:35:20
	s_and_b32 vcc_lo, exec_lo, s2
	s_wait_alu depctr_sa_sdst(0)
	s_cbranch_vccnz .LBB0_6
; %bb.5:
	.loc	1 35 44                         ; indirect_matmul.py:35:44
	s_mul_i32 s4, s43, s6
	.loc	1 35 29                         ; indirect_matmul.py:35:29
	s_wait_alu depctr_sa_sdst(0)
	s_ashr_i32 s5, s4, 31
	s_wait_alu depctr_sa_sdst(0)
	s_lshl_b64 s[4:5], s[4:5], 1
	s_wait_alu depctr_sa_sdst(0)
	v_add_co_u32 v4, vcc_lo, v76, s4
	s_wait_alu depctr_va_vcc(0)
	v_add_co_ci_u32_e64 v5, null, s5, v77, vcc_lo
	.loc	1 35 20                         ; indirect_matmul.py:35:20
	global_load_u16 v4, v[4:5], off
.LBB0_6:
	s_and_b32 vcc_lo, exec_lo, s2
	s_wait_alu depctr_sa_sdst(0)
	s_cbranch_vccnz .LBB0_8
; %bb.7:
	.loc	1 35 44                         ; indirect_matmul.py:35:44
	s_mul_i32 s4, s42, s6
	.loc	1 35 29                         ; indirect_matmul.py:35:29
	s_wait_alu depctr_sa_sdst(0)
	s_ashr_i32 s5, s4, 31
	s_wait_alu depctr_sa_sdst(0)
	s_lshl_b64 s[4:5], s[4:5], 1
	s_wait_alu depctr_sa_sdst(0)
	v_add_co_u32 v5, vcc_lo, v76, s4
	s_wait_alu depctr_va_vcc(0)
	v_add_co_ci_u32_e64 v6, null, s5, v77, vcc_lo
	.loc	1 35 20                         ; indirect_matmul.py:35:20
	global_load_u16 v3, v[5:6], off
.LBB0_8:
	.loc	1 0 20                          ; indirect_matmul.py:0:20
	v_dual_mov_b32 v5, 0 :: v_dual_mov_b32 v6, 0
	.loc	1 35 20                         ; indirect_matmul.py:35:20
	s_and_b32 vcc_lo, exec_lo, s2
	s_wait_alu depctr_sa_sdst(0)
	s_cbranch_vccnz .LBB0_10
; %bb.9:
	.loc	1 35 44                         ; indirect_matmul.py:35:44
	s_mul_i32 s4, s41, s6
	.loc	1 35 29                         ; indirect_matmul.py:35:29
	s_wait_alu depctr_sa_sdst(0)
	s_ashr_i32 s5, s4, 31
	s_wait_alu depctr_sa_sdst(0)
	s_lshl_b64 s[4:5], s[4:5], 1
	s_wait_alu depctr_sa_sdst(0)
	v_add_co_u32 v6, vcc_lo, v76, s4
	s_wait_alu depctr_va_vcc(0)
	v_add_co_ci_u32_e64 v7, null, s5, v77, vcc_lo
	.loc	1 35 20                         ; indirect_matmul.py:35:20
	global_load_u16 v6, v[6:7], off
.LBB0_10:
	s_and_b32 vcc_lo, exec_lo, s2
	;; [unrolled: 39-line block ×14, first 2 shown]
	s_wait_alu depctr_sa_sdst(0)
	s_cbranch_vccnz .LBB0_60
; %bb.59:
	.loc	1 35 44                         ; indirect_matmul.py:35:44
	s_mul_i32 s4, s13, s6
	.loc	1 35 29                         ; indirect_matmul.py:35:29
	s_wait_alu depctr_sa_sdst(0)
	s_ashr_i32 s5, s4, 31
	s_wait_alu depctr_sa_sdst(0)
	s_lshl_b64 s[4:5], s[4:5], 1
	s_wait_alu depctr_sa_sdst(0)
	v_add_co_u32 v31, vcc_lo, v76, s4
	s_wait_alu depctr_va_vcc(0)
	v_add_co_ci_u32_e64 v32, null, s5, v77, vcc_lo
	.loc	1 35 20                         ; indirect_matmul.py:35:20
	global_load_u16 v29, v[31:32], off
.LBB0_60:
	.loc	1 0 20                          ; indirect_matmul.py:0:20
	s_load_b64 s[4:5], s[0:1], 0x20
	v_dual_mov_b32 v31, 0 :: v_dual_mov_b32 v32, 0
	.loc	1 35 20                         ; indirect_matmul.py:35:20
	s_and_b32 vcc_lo, exec_lo, s2
	s_wait_alu depctr_sa_sdst(0)
	s_cbranch_vccnz .LBB0_62
; %bb.61:
	.loc	1 35 44                         ; indirect_matmul.py:35:44
	s_mul_i32 s46, s12, s6
	.loc	1 35 29                         ; indirect_matmul.py:35:29
	s_wait_alu depctr_sa_sdst(0)
	s_ashr_i32 s47, s46, 31
	s_wait_alu depctr_sa_sdst(0)
	s_lshl_b64 s[46:47], s[46:47], 1
	s_wait_alu depctr_sa_sdst(0)
	v_add_co_u32 v34, vcc_lo, v76, s46
	s_wait_alu depctr_va_vcc(0)
	v_add_co_ci_u32_e64 v35, null, s47, v77, vcc_lo
	.loc	1 35 20                         ; indirect_matmul.py:35:20
	global_load_u16 v32, v[34:35], off
.LBB0_62:
	s_and_b32 vcc_lo, exec_lo, s2
	s_wait_alu depctr_sa_sdst(0)
	s_cbranch_vccnz .LBB0_64
; %bb.63:
	.loc	1 35 44                         ; indirect_matmul.py:35:44
	s_mul_i32 s46, s3, s6
	.loc	1 35 29                         ; indirect_matmul.py:35:29
	s_wait_alu depctr_sa_sdst(0)
	s_ashr_i32 s47, s46, 31
	s_wait_alu depctr_sa_sdst(0)
	s_lshl_b64 s[46:47], s[46:47], 1
	s_wait_alu depctr_sa_sdst(0)
	v_add_co_u32 v34, vcc_lo, v76, s46
	s_wait_alu depctr_va_vcc(0)
	v_add_co_ci_u32_e64 v35, null, s47, v77, vcc_lo
	.loc	1 35 20                         ; indirect_matmul.py:35:20
	global_load_u16 v31, v[34:35], off
.LBB0_64:
	.loc	1 0 20                          ; indirect_matmul.py:0:20
	s_load_b32 s7, s[0:1], 0x28
	.loc	1 29 17 is_stmt 1               ; indirect_matmul.py:29:17
	s_wait_kmcnt 0x0
	v_add_co_u32 v92, s4, s4, v33
	v_dual_mov_b32 v78, 0 :: v_dual_mov_b32 v79, 0
	s_wait_alu depctr_va_sdst(0)
	v_add_co_ci_u32_e64 v93, null, s5, 0, s4
	.loc	1 36 20                         ; indirect_matmul.py:36:20
	s_and_b32 vcc_lo, exec_lo, s2
	s_wait_alu depctr_sa_sdst(0)
	s_cbranch_vccnz .LBB0_66
; %bb.65:
	.loc	1 0 20 is_stmt 0                ; indirect_matmul.py:0:20
	s_mul_i32 s4, s45, s7
	s_wait_alu depctr_sa_sdst(0)
	s_ashr_i32 s5, s4, 31
	s_wait_alu depctr_sa_sdst(0)
	s_lshl_b64 s[4:5], s[4:5], 1
	s_wait_alu depctr_sa_sdst(0)
	v_add_co_u32 v33, vcc_lo, v92, s4
	s_wait_alu depctr_va_vcc(0)
	v_add_co_ci_u32_e64 v34, null, s5, v93, vcc_lo
	.loc	1 36 20                         ; indirect_matmul.py:36:20
	global_load_u16 v79, v[33:34], off
.LBB0_66:
	s_and_b32 vcc_lo, exec_lo, s2
	s_wait_alu depctr_sa_sdst(0)
	s_cbranch_vccnz .LBB0_68
; %bb.67:
	.loc	1 36 44                         ; indirect_matmul.py:36:44
	s_mul_i32 s4, s44, s7
	.loc	1 36 29                         ; indirect_matmul.py:36:29
	s_wait_alu depctr_sa_sdst(0)
	s_ashr_i32 s5, s4, 31
	s_wait_alu depctr_sa_sdst(0)
	s_lshl_b64 s[4:5], s[4:5], 1
	s_wait_alu depctr_sa_sdst(0)
	v_add_co_u32 v33, vcc_lo, v92, s4
	s_wait_alu depctr_va_vcc(0)
	v_add_co_ci_u32_e64 v34, null, s5, v93, vcc_lo
	.loc	1 36 20                         ; indirect_matmul.py:36:20
	global_load_u16 v78, v[33:34], off
.LBB0_68:
	.loc	1 0 20                          ; indirect_matmul.py:0:20
	v_dual_mov_b32 v80, 0 :: v_dual_mov_b32 v81, 0
	.loc	1 36 20                         ; indirect_matmul.py:36:20
	s_and_b32 vcc_lo, exec_lo, s2
	s_wait_alu depctr_sa_sdst(0)
	s_cbranch_vccnz .LBB0_70
; %bb.69:
	.loc	1 36 44                         ; indirect_matmul.py:36:44
	s_mul_i32 s4, s43, s7
	.loc	1 36 29                         ; indirect_matmul.py:36:29
	s_wait_alu depctr_sa_sdst(0)
	s_ashr_i32 s5, s4, 31
	s_wait_alu depctr_sa_sdst(0)
	s_lshl_b64 s[4:5], s[4:5], 1
	s_wait_alu depctr_sa_sdst(0)
	v_add_co_u32 v33, vcc_lo, v92, s4
	s_wait_alu depctr_va_vcc(0)
	v_add_co_ci_u32_e64 v34, null, s5, v93, vcc_lo
	.loc	1 36 20                         ; indirect_matmul.py:36:20
	global_load_u16 v81, v[33:34], off
.LBB0_70:
	s_and_b32 vcc_lo, exec_lo, s2
	s_wait_alu depctr_sa_sdst(0)
	s_cbranch_vccnz .LBB0_72
; %bb.71:
	.loc	1 36 44                         ; indirect_matmul.py:36:44
	s_mul_i32 s4, s42, s7
	.loc	1 36 29                         ; indirect_matmul.py:36:29
	s_wait_alu depctr_sa_sdst(0)
	s_ashr_i32 s5, s4, 31
	s_wait_alu depctr_sa_sdst(0)
	s_lshl_b64 s[4:5], s[4:5], 1
	s_wait_alu depctr_sa_sdst(0)
	v_add_co_u32 v33, vcc_lo, v92, s4
	s_wait_alu depctr_va_vcc(0)
	v_add_co_ci_u32_e64 v34, null, s5, v93, vcc_lo
	.loc	1 36 20                         ; indirect_matmul.py:36:20
	global_load_u16 v80, v[33:34], off
.LBB0_72:
	.loc	1 0 20                          ; indirect_matmul.py:0:20
	v_dual_mov_b32 v82, 0 :: v_dual_mov_b32 v83, 0
	.loc	1 36 20                         ; indirect_matmul.py:36:20
	s_and_b32 vcc_lo, exec_lo, s2
	s_wait_alu depctr_sa_sdst(0)
	s_cbranch_vccnz .LBB0_74
; %bb.73:
	.loc	1 36 44                         ; indirect_matmul.py:36:44
	s_mul_i32 s4, s41, s7
	.loc	1 36 29                         ; indirect_matmul.py:36:29
	s_wait_alu depctr_sa_sdst(0)
	s_ashr_i32 s5, s4, 31
	s_wait_alu depctr_sa_sdst(0)
	s_lshl_b64 s[4:5], s[4:5], 1
	s_wait_alu depctr_sa_sdst(0)
	v_add_co_u32 v33, vcc_lo, v92, s4
	s_wait_alu depctr_va_vcc(0)
	v_add_co_ci_u32_e64 v34, null, s5, v93, vcc_lo
	.loc	1 36 20                         ; indirect_matmul.py:36:20
	global_load_u16 v83, v[33:34], off
.LBB0_74:
	;; [unrolled: 39-line block ×15, first 2 shown]
	s_and_b32 vcc_lo, exec_lo, s2
	s_wait_alu depctr_sa_sdst(0)
	s_cbranch_vccnz .LBB0_128
; %bb.127:
	.loc	1 36 44                         ; indirect_matmul.py:36:44
	s_mul_i32 s2, s3, s7
	.loc	1 36 29                         ; indirect_matmul.py:36:29
	s_wait_alu depctr_sa_sdst(0)
	s_ashr_i32 s3, s2, 31
	s_wait_alu depctr_sa_sdst(0)
	s_lshl_b64 s[2:3], s[2:3], 1
	s_wait_alu depctr_sa_sdst(0)
	v_add_co_u32 v33, vcc_lo, v92, s2
	s_wait_alu depctr_va_vcc(0)
	v_add_co_ci_u32_e64 v34, null, s3, v93, vcc_lo
	.loc	1 36 20                         ; indirect_matmul.py:36:20
	global_load_u16 v111, v[33:34], off
.LBB0_128:
	.loc	1 35 20 is_stmt 1               ; indirect_matmul.py:35:20
	v_lshlrev_b32_e32 v33, 1, v75
	.loc	1 32 25                         ; indirect_matmul.py:32:25
	s_sub_co_i32 s13, s10, 64
	.loc	1 35 20                         ; indirect_matmul.py:35:20
	s_mov_b32 s4, 0
	.loc	1 32 25                         ; indirect_matmul.py:32:25
	s_wait_alu depctr_sa_sdst(0)
	s_cmp_gt_i32 s13, 0
	.loc	1 35 20                         ; indirect_matmul.py:35:20
	v_and_b32_e32 v33, 0x1fe, v33
	s_delay_alu instid0(VALU_DEP_1)
	v_add_nc_u32_e32 v102, 0, v33
	s_wait_loadcnt 0x0
	ds_store_b16 v102, v2
	ds_store_b16 v102, v1 offset:512
	ds_store_b16 v102, v4 offset:1024
	;; [unrolled: 1-line block ×15, first 2 shown]
	v_lshlrev_b32_e32 v1, 7, v0
	ds_store_b16 v102, v18 offset:8192
	ds_store_b16 v102, v17 offset:8704
	;; [unrolled: 1-line block ×16, first 2 shown]
	.loc	1 32 25                         ; indirect_matmul.py:32:25
	s_cbranch_scc1 .LBB0_131
; %bb.129:                              ; %.._crit_edge_crit_edge
	.loc	1 35 20                         ; indirect_matmul.py:35:20
	v_and_b32_e32 v113, 0x800, v1
	s_and_b32 s12, s15, 0x60
	s_load_b64 s[2:3], s[0:1], 0x0
	v_mov_b32_e32 v8, 0
	s_and_not1_b32 vcc_lo, exec_lo, s4
	s_wait_alu depctr_sa_sdst(0)
	s_cbranch_vccz .LBB0_132
; %bb.130:
	.loc	1 0 20 is_stmt 0                ; indirect_matmul.py:0:20
	s_delay_alu instid0(VALU_DEP_1)
	v_dual_mov_b32 v7, v8 :: v_dual_mov_b32 v6, v8
	v_dual_mov_b32 v5, v8 :: v_dual_mov_b32 v4, v8
	;; [unrolled: 1-line block ×31, first 2 shown]
	v_mov_b32_e32 v57, v8
	s_branch .LBB0_134
.LBB0_131:
                                        ; implicit-def: $sgpr12
                                        ; implicit-def: $vgpr113
	s_load_b64 s[2:3], s[0:1], 0x0
	v_mov_b32_e32 v8, 0
.LBB0_132:                              ; %.lr.ph
	v_dual_mov_b32 v57, 0 :: v_dual_lshlrev_b32 v2, 1, v0
	v_dual_mov_b32 v114, 0 :: v_dual_and_b32 v113, 0x800, v1
	s_bfe_u32 s4, s14, 0x10002
	s_delay_alu instid0(VALU_DEP_2)
	v_and_b32_e32 v1, 30, v2
	s_and_b32 s12, s15, 0x60
	s_mov_b32 s5, 0
	v_mov_b32_e32 v58, v114
	.loc	1 32 25 is_stmt 1               ; indirect_matmul.py:32:25
	s_wait_alu depctr_sa_sdst(0)
	s_lshl_b32 s4, s4, 2
	v_add3_u32 v1, 0, v113, v1
	v_dual_mov_b32 v59, v114 :: v_dual_mov_b32 v60, v114
	v_dual_mov_b32 v61, v114 :: v_dual_mov_b32 v62, v114
	s_delay_alu instid0(VALU_DEP_3)
	v_dual_mov_b32 v64, v114 :: v_dual_add_nc_u32 v115, s12, v1
	v_lshl_add_u32 v116, s11, 3, v1
	v_dual_mov_b32 v63, v114 :: v_dual_mov_b32 v50, v114
	v_dual_mov_b32 v49, 0 :: v_dual_mov_b32 v52, v114
	;; [unrolled: 1-line block ×28, first 2 shown]
	v_mov_b32_e32 v7, v114
	s_wait_alu depctr_sa_sdst(0)
	s_add_nc_u64 s[8:9], s[8:9], s[4:5]
	s_delay_alu instid0(SALU_CYCLE_1)
	s_add_nc_u64 s[8:9], s[8:9], 0x1f8
.LBB0_133:                              ; =>This Inner Loop Header: Depth=1
	.loc	1 33 22                         ; indirect_matmul.py:33:22
	s_clause 0x1f
	global_load_b32 v117, v114, s[8:9] offset:-248
	global_load_b32 v118, v114, s[8:9] offset:-240
	;; [unrolled: 1-line block ×31, first 2 shown]
	global_load_b32 v148, v114, s[8:9]
	.loc	1 32 25                         ; indirect_matmul.py:32:25
	s_add_co_i32 s5, s5, 64
	s_add_nc_u64 s[8:9], s[8:9], 0x100
	s_wait_alu depctr_sa_sdst(0)
	s_cmp_lt_i32 s5, s13
	.loc	1 35 44                         ; indirect_matmul.py:35:44
	s_wait_loadcnt 0x1f
	v_mul_lo_u32 v65, v117, s6
	s_wait_loadcnt 0x1e
	v_mul_lo_u32 v67, v118, s6
	;; [unrolled: 2-line block ×8, first 2 shown]
	.loc	1 35 29 is_stmt 0               ; indirect_matmul.py:35:29
	v_ashrrev_i32_e32 v66, 31, v65
	v_ashrrev_i32_e32 v68, 31, v67
	;; [unrolled: 1-line block ×4, first 2 shown]
	.loc	1 35 44                         ; indirect_matmul.py:35:44
	s_wait_loadcnt 0x17
	v_mul_lo_u32 v155, v125, s6
	.loc	1 35 29                         ; indirect_matmul.py:35:29
	v_lshlrev_b64_e32 v[65:66], 1, v[65:66]
	v_lshlrev_b64_e32 v[67:68], 1, v[67:68]
	v_ashrrev_i32_e32 v74, 31, v73
	v_lshlrev_b64_e32 v[69:70], 1, v[69:70]
	.loc	1 35 44                         ; indirect_matmul.py:35:44
	s_wait_loadcnt 0x16
	v_mul_lo_u32 v157, v126, s6
	.loc	1 35 29                         ; indirect_matmul.py:35:29
	v_ashrrev_i32_e32 v150, 31, v149
	v_lshlrev_b64_e32 v[71:72], 1, v[71:72]
	v_add_co_u32 v203, vcc_lo, v76, v65
	.loc	1 35 44                         ; indirect_matmul.py:35:44
	s_wait_loadcnt 0x15
	v_mul_lo_u32 v159, v127, s6
	.loc	1 35 29                         ; indirect_matmul.py:35:29
	v_ashrrev_i32_e32 v152, 31, v151
	v_lshlrev_b64_e32 v[73:74], 1, v[73:74]
	s_wait_alu depctr_va_vcc(0)
	v_add_co_ci_u32_e64 v204, null, v77, v66, vcc_lo
	v_add_co_u32 v205, vcc_lo, v76, v67
	.loc	1 35 44                         ; indirect_matmul.py:35:44
	s_wait_loadcnt 0x14
	v_mul_lo_u32 v161, v128, s6
	.loc	1 35 29                         ; indirect_matmul.py:35:29
	v_ashrrev_i32_e32 v154, 31, v153
	v_lshlrev_b64_e32 v[149:150], 1, v[149:150]
	s_wait_alu depctr_va_vcc(0)
	v_add_co_ci_u32_e64 v206, null, v77, v68, vcc_lo
	;; [unrolled: 9-line block ×22, first 2 shown]
	v_add_co_u32 v183, vcc_lo, v76, v183
	v_ashrrev_i32_e32 v196, 31, v195
	v_lshlrev_b64_e32 v[191:192], 1, v[191:192]
	s_wait_alu depctr_va_vcc(0)
	v_add_co_ci_u32_e64 v184, null, v77, v184, vcc_lo
	v_add_co_u32 v185, vcc_lo, v76, v185
	v_ashrrev_i32_e32 v198, 31, v197
	v_lshlrev_b64_e32 v[193:194], 1, v[193:194]
	s_wait_alu depctr_va_vcc(0)
	v_add_co_ci_u32_e64 v186, null, v77, v186, vcc_lo
	;; [unrolled: 5-line block ×4, first 2 shown]
	v_add_co_u32 v191, vcc_lo, v76, v191
	v_lshlrev_b64_e32 v[199:200], 1, v[199:200]
	s_wait_alu depctr_va_vcc(0)
	v_add_co_ci_u32_e64 v192, null, v77, v192, vcc_lo
	v_add_co_u32 v65, vcc_lo, v76, v193
	v_lshlrev_b64_e32 v[201:202], 1, v[201:202]
	s_wait_alu depctr_va_vcc(0)
	v_add_co_ci_u32_e64 v66, null, v77, v194, vcc_lo
	v_add_co_u32 v67, vcc_lo, v76, v195
	s_wait_alu depctr_va_vcc(0)
	v_add_co_ci_u32_e64 v68, null, v77, v196, vcc_lo
	v_add_co_u32 v69, vcc_lo, v76, v197
	;; [unrolled: 3-line block ×4, first 2 shown]
	s_wait_alu depctr_va_vcc(0)
	v_add_co_ci_u32_e64 v74, null, v77, v202, vcc_lo
	.loc	1 35 20                         ; indirect_matmul.py:35:20
	s_clause 0x1f
	global_load_u16 v149, v[203:204], off
	global_load_u16 v150, v[205:206], off
	;; [unrolled: 1-line block ×32, first 2 shown]
	.loc	1 36 44 is_stmt 1               ; indirect_matmul.py:36:44
	v_mul_lo_u32 v69, v117, s7
	v_mul_lo_u32 v71, v118, s7
	;; [unrolled: 1-line block ×3, first 2 shown]
	v_dual_mov_b32 v177, v79 :: v_dual_mov_b32 v178, v78
	v_mul_lo_u32 v78, v120, s7
	v_dual_mov_b32 v179, v81 :: v_dual_mov_b32 v180, v80
	v_mul_lo_u32 v80, v121, s7
	.loc	1 36 29 is_stmt 0               ; indirect_matmul.py:36:29
	v_ashrrev_i32_e32 v70, 31, v69
	v_dual_mov_b32 v181, v83 :: v_dual_mov_b32 v182, v82
	.loc	1 36 44                         ; indirect_matmul.py:36:44
	v_mul_lo_u32 v82, v122, s7
	.loc	1 36 29                         ; indirect_matmul.py:36:29
	v_ashrrev_i32_e32 v72, 31, v71
	v_dual_mov_b32 v183, v85 :: v_dual_mov_b32 v184, v84
	.loc	1 36 44                         ; indirect_matmul.py:36:44
	v_mul_lo_u32 v84, v123, s7
	.loc	1 36 29                         ; indirect_matmul.py:36:29
	v_ashrrev_i32_e32 v74, 31, v73
	v_lshlrev_b64_e32 v[69:70], 1, v[69:70]
	v_dual_mov_b32 v185, v87 :: v_dual_mov_b32 v186, v86
	.loc	1 36 44                         ; indirect_matmul.py:36:44
	v_mul_lo_u32 v86, v124, s7
	.loc	1 36 29                         ; indirect_matmul.py:36:29
	v_ashrrev_i32_e32 v79, 31, v78
	v_lshlrev_b64_e32 v[71:72], 1, v[71:72]
	;; [unrolled: 6-line block ×4, first 2 shown]
	v_add_co_u32 v69, vcc_lo, v92, v69
	v_dual_mov_b32 v191, v95 :: v_dual_mov_b32 v192, v94
	.loc	1 36 44                         ; indirect_matmul.py:36:44
	v_mul_lo_u32 v94, v127, s7
	.loc	1 36 29                         ; indirect_matmul.py:36:29
	v_ashrrev_i32_e32 v85, 31, v84
	v_lshlrev_b64_e32 v[80:81], 1, v[80:81]
	s_wait_alu depctr_va_vcc(0)
	v_add_co_ci_u32_e64 v70, null, v93, v70, vcc_lo
	v_add_co_u32 v71, vcc_lo, v92, v71
	v_dual_mov_b32 v193, v97 :: v_dual_mov_b32 v194, v96
	.loc	1 36 44                         ; indirect_matmul.py:36:44
	v_mul_lo_u32 v96, v128, s7
	.loc	1 36 29                         ; indirect_matmul.py:36:29
	v_ashrrev_i32_e32 v87, 31, v86
	v_lshlrev_b64_e32 v[82:83], 1, v[82:83]
	s_wait_alu depctr_va_vcc(0)
	v_add_co_ci_u32_e64 v72, null, v93, v72, vcc_lo
	v_add_co_u32 v73, vcc_lo, v92, v73
	v_dual_mov_b32 v195, v99 :: v_dual_mov_b32 v196, v98
	.loc	1 36 44                         ; indirect_matmul.py:36:44
	v_mul_lo_u32 v98, v129, s7
	.loc	1 36 29                         ; indirect_matmul.py:36:29
	v_ashrrev_i32_e32 v89, 31, v88
	v_dual_mov_b32 v199, v104 :: v_dual_mov_b32 v200, v103
	.loc	1 36 44                         ; indirect_matmul.py:36:44
	v_mul_lo_u32 v103, v131, s7
	v_mul_lo_u32 v131, v143, s7
	.loc	1 36 29                         ; indirect_matmul.py:36:29
	v_lshlrev_b64_e32 v[84:85], 1, v[84:85]
	s_wait_alu depctr_va_vcc(0)
	v_add_co_ci_u32_e64 v74, null, v93, v74, vcc_lo
	v_add_co_u32 v143, vcc_lo, v92, v78
	v_dual_mov_b32 v197, v101 :: v_dual_mov_b32 v198, v100
	.loc	1 36 44                         ; indirect_matmul.py:36:44
	v_mul_lo_u32 v100, v130, s7
	.loc	1 36 29                         ; indirect_matmul.py:36:29
	v_ashrrev_i32_e32 v91, 31, v90
	v_dual_mov_b32 v203, v108 :: v_dual_mov_b32 v204, v107
	v_dual_mov_b32 v207, v112 :: v_dual_mov_b32 v208, v111
	.loc	1 36 44                         ; indirect_matmul.py:36:44
	v_mul_lo_u32 v107, v133, s7
	v_mul_lo_u32 v111, v135, s7
	;; [unrolled: 1-line block ×4, first 2 shown]
	.loc	1 36 29                         ; indirect_matmul.py:36:29
	v_lshlrev_b64_e32 v[86:87], 1, v[86:87]
	s_wait_alu depctr_va_vcc(0)
	v_add_co_ci_u32_e64 v144, null, v93, v79, vcc_lo
	v_add_co_u32 v145, vcc_lo, v92, v80
	v_ashrrev_i32_e32 v95, 31, v94
	.loc	1 36 44                         ; indirect_matmul.py:36:44
	v_mul_lo_u32 v119, v137, s7
	v_mul_lo_u32 v123, v139, s7
	;; [unrolled: 1-line block ×4, first 2 shown]
	.loc	1 36 29                         ; indirect_matmul.py:36:29
	v_lshlrev_b64_e32 v[88:89], 1, v[88:89]
	s_wait_alu depctr_va_vcc(0)
	v_add_co_ci_u32_e64 v146, null, v93, v81, vcc_lo
	v_add_co_u32 v147, vcc_lo, v92, v82
	v_dual_mov_b32 v201, v106 :: v_dual_mov_b32 v202, v105
	.loc	1 36 44                         ; indirect_matmul.py:36:44
	v_mul_lo_u32 v105, v132, s7
	.loc	1 36 29                         ; indirect_matmul.py:36:29
	v_ashrrev_i32_e32 v97, 31, v96
	.loc	1 36 44                         ; indirect_matmul.py:36:44
	v_mul_lo_u32 v127, v141, s7
	v_mul_lo_u32 v141, v148, s7
	.loc	1 36 29                         ; indirect_matmul.py:36:29
	v_lshlrev_b64_e32 v[90:91], 1, v[90:91]
	s_wait_alu depctr_va_vcc(0)
	v_add_co_ci_u32_e64 v148, null, v93, v83, vcc_lo
	v_add_co_u32 v84, vcc_lo, v92, v84
	v_ashrrev_i32_e32 v99, 31, v98
	v_lshlrev_b64_e32 v[94:95], 1, v[94:95]
	s_wait_alu depctr_va_vcc(0)
	v_add_co_ci_u32_e64 v85, null, v93, v85, vcc_lo
	v_add_co_u32 v86, vcc_lo, v92, v86
	v_dual_mov_b32 v205, v110 :: v_dual_mov_b32 v206, v109
	.loc	1 36 44                         ; indirect_matmul.py:36:44
	v_mul_lo_u32 v109, v134, s7
	.loc	1 36 29                         ; indirect_matmul.py:36:29
	v_ashrrev_i32_e32 v101, 31, v100
	v_lshlrev_b64_e32 v[96:97], 1, v[96:97]
	s_wait_alu depctr_va_vcc(0)
	v_add_co_ci_u32_e64 v87, null, v93, v87, vcc_lo
	v_add_co_u32 v88, vcc_lo, v92, v88
	v_ashrrev_i32_e32 v104, 31, v103
	v_lshlrev_b64_e32 v[98:99], 1, v[98:99]
	s_wait_alu depctr_va_vcc(0)
	v_add_co_ci_u32_e64 v89, null, v93, v89, vcc_lo
	v_add_co_u32 v90, vcc_lo, v92, v90
	.loc	1 36 44                         ; indirect_matmul.py:36:44
	v_mul_lo_u32 v117, v136, s7
	.loc	1 36 29                         ; indirect_matmul.py:36:29
	v_ashrrev_i32_e32 v106, 31, v105
	v_lshlrev_b64_e32 v[100:101], 1, v[100:101]
	s_wait_alu depctr_va_vcc(0)
	v_add_co_ci_u32_e64 v91, null, v93, v91, vcc_lo
	v_add_co_u32 v94, vcc_lo, v92, v94
	v_ashrrev_i32_e32 v108, 31, v107
	v_lshlrev_b64_e32 v[103:104], 1, v[103:104]
	s_wait_alu depctr_va_vcc(0)
	v_add_co_ci_u32_e64 v95, null, v93, v95, vcc_lo
	v_add_co_u32 v96, vcc_lo, v92, v96
	.loc	1 36 44                         ; indirect_matmul.py:36:44
	v_mul_lo_u32 v121, v138, s7
	.loc	1 36 29                         ; indirect_matmul.py:36:29
	v_ashrrev_i32_e32 v110, 31, v109
	v_lshlrev_b64_e32 v[105:106], 1, v[105:106]
	s_wait_alu depctr_va_vcc(0)
	v_add_co_ci_u32_e64 v97, null, v93, v97, vcc_lo
	v_add_co_u32 v98, vcc_lo, v92, v98
	v_ashrrev_i32_e32 v112, 31, v111
	v_lshlrev_b64_e32 v[107:108], 1, v[107:108]
	s_wait_alu depctr_va_vcc(0)
	v_add_co_ci_u32_e64 v99, null, v93, v99, vcc_lo
	v_add_co_u32 v100, vcc_lo, v92, v100
	.loc	1 36 44                         ; indirect_matmul.py:36:44
	v_mul_lo_u32 v125, v140, s7
	.loc	1 36 29                         ; indirect_matmul.py:36:29
	v_ashrrev_i32_e32 v118, 31, v117
	v_lshlrev_b64_e32 v[109:110], 1, v[109:110]
	s_wait_alu depctr_va_vcc(0)
	v_add_co_ci_u32_e64 v101, null, v93, v101, vcc_lo
	v_add_co_u32 v103, vcc_lo, v92, v103
	v_ashrrev_i32_e32 v120, 31, v119
	v_lshlrev_b64_e32 v[111:112], 1, v[111:112]
	s_wait_alu depctr_va_vcc(0)
	v_add_co_ci_u32_e64 v104, null, v93, v104, vcc_lo
	v_add_co_u32 v105, vcc_lo, v92, v105
	.loc	1 36 44                         ; indirect_matmul.py:36:44
	v_mul_lo_u32 v129, v142, s7
	.loc	1 36 29                         ; indirect_matmul.py:36:29
	v_ashrrev_i32_e32 v122, 31, v121
	v_lshlrev_b64_e32 v[117:118], 1, v[117:118]
	s_wait_alu depctr_va_vcc(0)
	v_add_co_ci_u32_e64 v106, null, v93, v106, vcc_lo
	v_add_co_u32 v107, vcc_lo, v92, v107
	v_ashrrev_i32_e32 v124, 31, v123
	v_lshlrev_b64_e32 v[119:120], 1, v[119:120]
	s_wait_alu depctr_va_vcc(0)
	v_add_co_ci_u32_e64 v108, null, v93, v108, vcc_lo
	v_add_co_u32 v109, vcc_lo, v92, v109
	v_ashrrev_i32_e32 v126, 31, v125
	v_lshlrev_b64_e32 v[121:122], 1, v[121:122]
	s_wait_alu depctr_va_vcc(0)
	v_add_co_ci_u32_e64 v110, null, v93, v110, vcc_lo
	v_add_co_u32 v111, vcc_lo, v92, v111
	v_ashrrev_i32_e32 v128, 31, v127
	v_lshlrev_b64_e32 v[123:124], 1, v[123:124]
	s_wait_alu depctr_va_vcc(0)
	v_add_co_ci_u32_e64 v112, null, v93, v112, vcc_lo
	v_add_co_u32 v117, vcc_lo, v92, v117
	v_ashrrev_i32_e32 v130, 31, v129
	v_lshlrev_b64_e32 v[125:126], 1, v[125:126]
	s_wait_alu depctr_va_vcc(0)
	v_add_co_ci_u32_e64 v118, null, v93, v118, vcc_lo
	v_add_co_u32 v119, vcc_lo, v92, v119
	v_ashrrev_i32_e32 v132, 31, v131
	v_lshlrev_b64_e32 v[127:128], 1, v[127:128]
	s_wait_alu depctr_va_vcc(0)
	v_add_co_ci_u32_e64 v120, null, v93, v120, vcc_lo
	v_add_co_u32 v121, vcc_lo, v92, v121
	v_ashrrev_i32_e32 v134, 31, v133
	v_lshlrev_b64_e32 v[129:130], 1, v[129:130]
	s_wait_alu depctr_va_vcc(0)
	v_add_co_ci_u32_e64 v122, null, v93, v122, vcc_lo
	v_add_co_u32 v123, vcc_lo, v92, v123
	v_ashrrev_i32_e32 v136, 31, v135
	v_lshlrev_b64_e32 v[131:132], 1, v[131:132]
	s_wait_alu depctr_va_vcc(0)
	v_add_co_ci_u32_e64 v124, null, v93, v124, vcc_lo
	v_add_co_u32 v125, vcc_lo, v92, v125
	v_ashrrev_i32_e32 v138, 31, v137
	v_lshlrev_b64_e32 v[133:134], 1, v[133:134]
	s_wait_alu depctr_va_vcc(0)
	v_add_co_ci_u32_e64 v126, null, v93, v126, vcc_lo
	v_add_co_u32 v127, vcc_lo, v92, v127
	v_ashrrev_i32_e32 v140, 31, v139
	v_lshlrev_b64_e32 v[135:136], 1, v[135:136]
	s_wait_alu depctr_va_vcc(0)
	v_add_co_ci_u32_e64 v128, null, v93, v128, vcc_lo
	v_add_co_u32 v129, vcc_lo, v92, v129
	v_ashrrev_i32_e32 v142, 31, v141
	v_lshlrev_b64_e32 v[137:138], 1, v[137:138]
	s_wait_alu depctr_va_vcc(0)
	v_add_co_ci_u32_e64 v130, null, v93, v130, vcc_lo
	v_add_co_u32 v131, vcc_lo, v92, v131
	v_lshlrev_b64_e32 v[139:140], 1, v[139:140]
	s_wait_alu depctr_va_vcc(0)
	v_add_co_ci_u32_e64 v132, null, v93, v132, vcc_lo
	v_add_co_u32 v133, vcc_lo, v92, v133
	v_lshlrev_b64_e32 v[141:142], 1, v[141:142]
	s_wait_alu depctr_va_vcc(0)
	v_add_co_ci_u32_e64 v134, null, v93, v134, vcc_lo
	v_add_co_u32 v135, vcc_lo, v92, v135
	s_wait_alu depctr_va_vcc(0)
	v_add_co_ci_u32_e64 v136, null, v93, v136, vcc_lo
	v_add_co_u32 v137, vcc_lo, v92, v137
	;; [unrolled: 3-line block ×4, first 2 shown]
	s_wait_alu depctr_va_vcc(0)
	v_add_co_ci_u32_e64 v142, null, v93, v142, vcc_lo
	.loc	1 35 20 is_stmt 1               ; indirect_matmul.py:35:20
	s_wait_loadcnt_dscnt 0x0
	s_barrier_signal -1
	s_barrier_wait -1
	global_inv scope:SCOPE_SE
	.loc	1 36 20                         ; indirect_matmul.py:36:20
	s_clause 0x1f
	global_load_u16 v79, v[69:70], off
	global_load_u16 v78, v[71:72], off
	;; [unrolled: 1-line block ×32, first 2 shown]
	.loc	1 35 20                         ; indirect_matmul.py:35:20
	ds_load_u16 v71, v115 offset:1024
	ds_load_u16 v72, v115 offset:1536
	;; [unrolled: 1-line block ×29, first 2 shown]
	ds_load_u16 v69, v115
	s_wait_dscnt 0x17
	ds_load_u16_d16_hi v117, v115 offset:4352
	s_wait_dscnt 0x17
	ds_load_u16_d16_hi v118, v115 offset:4864
	;; [unrolled: 2-line block ×3, first 2 shown]
	ds_load_u16 v70, v115 offset:512
	ds_load_u16 v125, v115 offset:128
	ds_load_u16_d16_hi v71, v115 offset:1280
	ds_load_u16_d16_hi v72, v115 offset:1792
	;; [unrolled: 1-line block ×6, first 2 shown]
	s_wait_dscnt 0x17
	ds_load_u16_d16_hi v129, v115 offset:8448
	s_wait_dscnt 0x14
	ds_load_u16_d16_hi v124, v115 offset:6016
	ds_load_u16_d16_hi v123, v115 offset:5504
	;; [unrolled: 1-line block ×8, first 2 shown]
	s_wait_dscnt 0x17
	ds_load_u16_d16_hi v144, v115 offset:14208
	ds_load_u16_d16_hi v137, v115 offset:12544
	;; [unrolled: 1-line block ×7, first 2 shown]
	s_wait_dscnt 0x1d
	ds_load_u16_d16_hi v143, v115 offset:13696
	s_wait_dscnt 0x1d
	ds_load_u16_d16_hi v142, v115 offset:13184
	s_wait_dscnt 0x1d
	ds_load_u16_d16_hi v69, v115 offset:256
	s_wait_dscnt 0x1a
	ds_load_u16_d16_hi v70, v115 offset:768
	s_wait_dscnt 0x1a
	ds_load_u16_d16_hi v125, v115 offset:384
	ds_load_u16_d16_hi v127, v115 offset:1408
	ds_load_u16_d16_hi v126, v115 offset:896
	.loc	1 38 21                         ; indirect_matmul.py:38:21
	ds_store_b16 v102, v177 offset:16384
	ds_store_b16 v102, v178 offset:16896
	;; [unrolled: 1-line block ×32, first 2 shown]
	s_wait_loadcnt_dscnt 0x0
	s_barrier_signal -1
	s_barrier_wait -1
	global_inv scope:SCOPE_SE
	ds_load_u16 v147, v116 offset:17536
	ds_load_u16 v177, v116 offset:17408
	;; [unrolled: 1-line block ×45, first 2 shown]
	.loc	1 35 20                         ; indirect_matmul.py:35:20
	ds_store_b16 v102, v149
	ds_store_b16 v102, v150 offset:512
	ds_store_b16 v102, v151 offset:1024
	;; [unrolled: 1-line block ×27, first 2 shown]
	.loc	1 38 21                         ; indirect_matmul.py:38:21
	ds_load_u16 v175, v116 offset:16384
	ds_load_u16 v176, v116 offset:16896
	;; [unrolled: 1-line block ×5, first 2 shown]
	s_wait_dscnt 0x3e
	ds_load_u16_d16_hi v180, v116 offset:17344
	ds_load_u16 v179, v116 offset:16576
	ds_load_u16_d16_hi v147, v116 offset:17792
	ds_load_u16_d16_hi v178, v116 offset:18176
	;; [unrolled: 1-line block ×3, first 2 shown]
	ds_load_u16 v186, v116 offset:17984
	ds_load_u16_d16_hi v191, v116 offset:20736
	ds_load_u16_d16_hi v187, v116 offset:20864
	ds_load_u16 v149, v116 offset:20544
	ds_load_u16_d16_hi v192, v116 offset:21248
	ds_load_u16_d16_hi v188, v116 offset:21376
	;; [unrolled: 3-line block ×3, first 2 shown]
	ds_load_u16 v151, v116 offset:21568
	s_wait_dscnt 0x3e
	ds_load_u16_d16_hi v194, v116 offset:22272
	ds_load_u16_d16_hi v190, v116 offset:22400
	ds_load_u16 v152, v116 offset:22080
	s_wait_dscnt 0x16
	ds_load_u16_d16_hi v175, v116 offset:16640
	ds_load_u16_d16_hi v177, v116 offset:17664
	s_wait_dscnt 0x17
	ds_load_u16_d16_hi v176, v116 offset:17152
	ds_load_u16_d16_hi v199, v116 offset:24960
	;; [unrolled: 1-line block ×3, first 2 shown]
	ds_load_u16 v153, v116 offset:24640
	ds_load_u16_d16_hi v200, v116 offset:25472
	ds_load_u16_d16_hi v204, v116 offset:25344
	ds_load_u16 v154, v116 offset:25152
	ds_load_u16_d16_hi v205, v116 offset:25856
	ds_load_u16_d16_hi v201, v116 offset:25984
	;; [unrolled: 3-line block ×7, first 2 shown]
	ds_load_u16 v160, v116 offset:30272
	s_wait_dscnt 0x2f
	ds_load_u16_d16_hi v183, v116 offset:16704
	s_wait_dscnt 0x2f
	ds_load_u16_d16_hi v145, v116 offset:16768
	;; [unrolled: 2-line block ×3, first 2 shown]
	ds_load_u16_d16_hi v184, v116 offset:17216
	ds_load_u16_d16_hi v146, v116 offset:17280
	;; [unrolled: 1-line block ×4, first 2 shown]
	s_wait_dscnt 0x2e
	ds_load_u16_d16_hi v186, v116 offset:18240
	ds_load_u16_d16_hi v182, v116 offset:18368
	s_wait_dscnt 0x2d
	ds_load_u16_d16_hi v149, v116 offset:20800
	ds_load_u16_d16_hi v195, v116 offset:20928
	;; [unrolled: 3-line block ×13, first 2 shown]
	.loc	1 38 26 is_stmt 0               ; indirect_matmul.py:38:26
	v_wmma_f32_16x16x16_f16 v[57:64], v[69:72], v[175:178], v[57:64]
	v_wmma_f32_16x16x16_f16 v[49:56], v[125:128], v[175:178], v[49:56]
	s_wait_dscnt 0x18
	v_wmma_f32_16x16x16_f16 v[9:16], v[69:72], v[179:182], v[9:16]
	v_wmma_f32_16x16x16_f16 v[41:48], v[69:72], v[183:186], v[41:48]
	;; [unrolled: 1-line block ×8, first 2 shown]
	s_wait_dscnt 0x11
	v_wmma_f32_16x16x16_f16 v[41:48], v[117:120], v[149:152], v[41:48]
	v_wmma_f32_16x16x16_f16 v[33:40], v[121:124], v[149:152], v[33:40]
	v_wmma_f32_16x16x16_f16 v[25:32], v[117:120], v[187:190], v[25:32]
	v_wmma_f32_16x16x16_f16 v[17:24], v[121:124], v[187:190], v[17:24]
	s_wait_dscnt 0x10
	v_wmma_f32_16x16x16_f16 v[9:16], v[117:120], v[195:198], v[9:16]
	v_wmma_f32_16x16x16_f16 v[1:8], v[121:124], v[195:198], v[1:8]
	v_wmma_f32_16x16x16_f16 v[57:64], v[129:132], v[203:206], v[57:64]
	v_wmma_f32_16x16x16_f16 v[49:56], v[133:136], v[203:206], v[49:56]
	;; [unrolled: 5-line block ×5, first 2 shown]
	s_wait_dscnt 0x0
	v_wmma_f32_16x16x16_f16 v[9:16], v[137:140], v[219:222], v[9:16]
	v_wmma_f32_16x16x16_f16 v[1:8], v[141:144], v[219:222], v[1:8]
	.loc	1 35 20 is_stmt 1               ; indirect_matmul.py:35:20
	ds_store_b16 v102, v65 offset:14336
	ds_store_b16 v102, v66 offset:14848
	ds_store_b16 v102, v67 offset:15360
	ds_store_b16 v102, v68 offset:15872
	.loc	1 32 25                         ; indirect_matmul.py:32:25
	s_cbranch_scc1 .LBB0_133
.LBB0_134:                              ; %Flow382
	.loc	1 35 20                         ; indirect_matmul.py:35:20
	s_wait_loadcnt_dscnt 0x0
	s_barrier_signal -1
	v_and_b32_e32 v0, 15, v0
	v_add_nc_u32_e32 v163, 0, v113
	s_load_b32 s0, s[0:1], 0x8
	.loc	1 32 25                         ; indirect_matmul.py:32:25
	s_add_co_i32 s1, s10, 63
	s_delay_alu instid0(VALU_DEP_2) | instskip(SKIP_1) | instid1(VALU_DEP_1)
	.loc	1 35 20                         ; indirect_matmul.py:35:20
	v_lshlrev_b32_e32 v164, 1, v0
	.loc	1 32 25                         ; indirect_matmul.py:32:25
	s_cmp_lt_i32 s1, 64
	.loc	1 35 20                         ; indirect_matmul.py:35:20
	v_add3_u32 v92, v163, v164, s12
	s_barrier_wait -1
	global_inv scope:SCOPE_SE
	ds_load_u16 v141, v92
	ds_load_u16 v142, v92 offset:256
	ds_load_u16 v145, v92 offset:512
	;; [unrolled: 1-line block ×63, first 2 shown]
	.loc	1 38 21                         ; indirect_matmul.py:38:21
	ds_store_b16 v102, v79 offset:16384
	ds_store_b16 v102, v78 offset:16896
	;; [unrolled: 1-line block ×32, first 2 shown]
	s_wait_loadcnt_dscnt 0x0
	s_barrier_signal -1
	s_barrier_wait -1
	global_inv scope:SCOPE_SE
	s_cbranch_scc1 .LBB0_136
; %bb.135:
	s_lshl_b32 s1, s11, 3
	.loc	1 38 26 is_stmt 0               ; indirect_matmul.py:38:26
	v_perm_b32 v202, v160, v158, 0x5040100
	.loc	1 38 21                         ; indirect_matmul.py:38:21
	v_add3_u32 v91, v163, s1, v164
	.loc	1 38 26                         ; indirect_matmul.py:38:26
	v_perm_b32 v201, v156, v155, 0x5040100
	v_perm_b32 v200, v146, v145, 0x5040100
	;; [unrolled: 1-line block ×4, first 2 shown]
	.loc	1 38 21                         ; indirect_matmul.py:38:21
	ds_load_u16 v81, v91 offset:30208
	ds_load_u16 v80, v91 offset:29696
	;; [unrolled: 1-line block ×11, first 2 shown]
	.loc	1 38 26                         ; indirect_matmul.py:38:26
	v_perm_b32 v160, v121, v123, 0x5040100
	v_perm_b32 v159, v122, v124, 0x5040100
	;; [unrolled: 1-line block ×19, first 2 shown]
	.loc	1 38 21                         ; indirect_matmul.py:38:21
	s_wait_dscnt 0xa
	ds_load_u16_d16_hi v81, v91 offset:30464
	ds_load_u16 v101, v91 offset:30272
	s_wait_dscnt 0xb
	ds_load_u16_d16_hi v80, v91 offset:29952
	ds_load_u16 v100, v91 offset:29760
	ds_load_u16 v104, v91 offset:29824
	;; [unrolled: 1-line block ×3, first 2 shown]
	s_wait_dscnt 0xe
	ds_load_u16_d16_hi v79, v91 offset:29440
	ds_load_u16 v99, v91 offset:29248
	ds_load_u16 v109, v91 offset:26304
	;; [unrolled: 1-line block ×4, first 2 shown]
	s_wait_dscnt 0x12
	ds_load_u16_d16_hi v85, v91 offset:26368
	ds_load_u16 v166, v91 offset:26176
	ds_load_u16 v170, v91 offset:26240
	ds_load_u16 v108, v91 offset:25792
	s_wait_dscnt 0x15
	ds_load_u16_d16_hi v84, v91 offset:25856
	ds_load_u16 v165, v91 offset:25664
	ds_load_u16 v169, v91 offset:25728
	ds_load_u16 v107, v91 offset:25280
	;; [unrolled: 5-line block ×4, first 2 shown]
	s_wait_dscnt 0x1e
	ds_load_u16_d16_hi v89, v91 offset:22272
	ds_load_u16 v178, v91 offset:22080
	s_wait_dscnt 0x1d
	ds_load_u16_d16_hi v97, v91 offset:30656
	.loc	1 38 26                         ; indirect_matmul.py:38:26
	v_perm_b32 v90, v150, v149, 0x5040100
	v_perm_b32 v68, v66, v68, 0x5040100
	.loc	1 38 21                         ; indirect_matmul.py:38:21
	s_wait_dscnt 0x1c
	ds_load_u16_d16_hi v101, v91 offset:30528
	s_wait_dscnt 0x1b
	ds_load_u16_d16_hi v100, v91 offset:30016
	ds_load_u16 v96, v91 offset:29888
	s_wait_dscnt 0x1c
	ds_load_u16_d16_hi v104, v91 offset:30080
	ds_load_u16 v105, v91 offset:30336
	s_wait_dscnt 0x1d
	ds_load_u16_d16_hi v95, v91 offset:29632
	s_wait_dscnt 0x1c
	ds_load_u16_d16_hi v99, v91 offset:29504
	ds_load_u16 v103, v91 offset:29312
	s_wait_dscnt 0x1c
	ds_load_u16_d16_hi v102, v91 offset:29056
	ds_load_u16 v94, v91 offset:28864
	ds_load_u16_d16_hi v109, v91 offset:26560
	s_wait_dscnt 0x1e
	ds_load_u16_d16_hi v78, v91 offset:28928
	ds_load_u16 v98, v91 offset:28736
	s_wait_dscnt 0x1e
	ds_load_u16_d16_hi v166, v91 offset:26432
	s_wait_dscnt 0x1e
	ds_load_u16_d16_hi v170, v91 offset:26496
	s_wait_dscnt 0x1e
	ds_load_u16_d16_hi v108, v91 offset:26048
	s_wait_dscnt 0x1d
	ds_load_u16_d16_hi v165, v91 offset:25920
	s_wait_dscnt 0x1d
	ds_load_u16_d16_hi v169, v91 offset:25984
	s_wait_dscnt 0x1d
	ds_load_u16_d16_hi v107, v91 offset:25536
	s_wait_dscnt 0x1c
	ds_load_u16_d16_hi v164, v91 offset:25408
	s_wait_dscnt 0x1c
	ds_load_u16_d16_hi v168, v91 offset:25472
	s_wait_dscnt 0x1c
	ds_load_u16_d16_hi v106, v91 offset:25024
	s_wait_dscnt 0x1b
	ds_load_u16_d16_hi v163, v91 offset:24896
	s_wait_dscnt 0x1b
	ds_load_u16_d16_hi v167, v91 offset:24960
	s_wait_dscnt 0x1b
	ds_load_u16_d16_hi v174, v91 offset:22464
	s_wait_dscnt 0x1a
	ds_load_u16_d16_hi v178, v91 offset:22336
	ds_load_u16 v86, v91 offset:20480
	ds_load_u16 v182, v91 offset:17920
	ds_load_u16 v186, v91 offset:22144
	ds_load_u16 v173, v91 offset:21696
	ds_load_u16_d16_hi v88, v91 offset:21760
	ds_load_u16 v177, v91 offset:21568
	ds_load_u16 v181, v91 offset:17408
	;; [unrolled: 1-line block ×11, first 2 shown]
	ds_load_u16_d16_hi v87, v91 offset:21248
	ds_load_u16 v176, v91 offset:21056
	ds_load_u16 v184, v91 offset:21120
	;; [unrolled: 1-line block ×3, first 2 shown]
	s_wait_dscnt 0x26
	ds_load_u16_d16_hi v103, v91 offset:29568
	s_wait_dscnt 0x25
	ds_load_u16_d16_hi v94, v91 offset:29120
	;; [unrolled: 2-line block ×3, first 2 shown]
	ds_load_u16_d16_hi v96, v91 offset:30144
	ds_load_u16_d16_hi v105, v91 offset:30592
	s_wait_dscnt 0x18
	ds_load_u16_d16_hi v86, v91 offset:20736
	ds_load_u16 v175, v91 offset:20544
	ds_load_u16 v183, v91 offset:20608
	;; [unrolled: 1-line block ×3, first 2 shown]
	s_wait_dscnt 0x1b
	ds_load_u16_d16_hi v182, v91 offset:18176
	ds_load_u16 v198, v91 offset:17984
	s_wait_dscnt 0x18
	ds_load_u16_d16_hi v181, v91 offset:17664
	ds_load_u16 v192, v91 offset:17088
	s_wait_dscnt 0x18
	ds_load_u16_d16_hi v191, v91 offset:16832
	s_wait_dscnt 0x18
	ds_load_u16_d16_hi v188, v91 offset:17280
	;; [unrolled: 2-line block ×3, first 2 shown]
	ds_load_u16 v196, v91 offset:16960
	s_wait_dscnt 0x19
	ds_load_u16_d16_hi v187, v91 offset:16768
	s_wait_dscnt 0x19
	ds_load_u16_d16_hi v195, v91 offset:16704
	;; [unrolled: 2-line block ×3, first 2 shown]
	ds_load_u16_d16_hi v186, v91 offset:22400
	ds_load_u16_d16_hi v173, v91 offset:21952
	;; [unrolled: 1-line block ×3, first 2 shown]
	ds_load_u16 v193, v91 offset:17600
	ds_load_u16 v190, v91 offset:18048
	ds_load_u16 v197, v91 offset:17472
	s_wait_dscnt 0x1f
	ds_load_u16_d16_hi v185, v91 offset:21888
	s_wait_dscnt 0x1f
	ds_load_u16_d16_hi v172, v91 offset:21440
	;; [unrolled: 2-line block ×10, first 2 shown]
	ds_load_u16_d16_hi v193, v91 offset:17856
	s_wait_dscnt 0xb
	ds_load_u16_d16_hi v197, v91 offset:17728
	ds_load_u16_d16_hi v189, v91 offset:17792
	ds_load_u16_d16_hi v192, v91 offset:17344
	ds_load_u16_d16_hi v196, v91 offset:17216
	.loc	1 38 26                         ; indirect_matmul.py:38:26
	v_wmma_f32_16x16x16_f16 v[57:64], v[199:202], v[179:182], v[57:64]
	v_wmma_f32_16x16x16_f16 v[49:56], v[157:160], v[179:182], v[49:56]
	s_delay_alu instid0(VALU_DEP_2) | instskip(NEXT) | instid1(VALU_DEP_2)
	v_wmma_f32_16x16x16_f16 v[57:64], v[153:156], v[86:89], v[57:64]
	v_wmma_f32_16x16x16_f16 v[49:56], v[120:123], v[86:89], v[49:56]
	v_perm_b32 v89, v115, v93, 0x5040100
	v_perm_b32 v88, v72, v71, 0x5040100
	;; [unrolled: 1-line block ×3, first 2 shown]
	v_wmma_f32_16x16x16_f16 v[57:64], v[110:113], v[82:85], v[57:64]
	v_wmma_f32_16x16x16_f16 v[49:56], v[116:119], v[82:85], v[49:56]
	v_perm_b32 v71, v73, v76, 0x5040100
	v_perm_b32 v70, v74, v92, 0x5040100
	v_perm_b32 v69, v65, v67, 0x5040100
	v_wmma_f32_16x16x16_f16 v[57:64], v[87:90], v[78:81], v[57:64]
	s_wait_dscnt 0x2
	v_wmma_f32_16x16x16_f16 v[25:32], v[199:202], v[187:190], v[25:32]
	v_wmma_f32_16x16x16_f16 v[17:24], v[157:160], v[187:190], v[17:24]
	s_wait_dscnt 0x0
	v_wmma_f32_16x16x16_f16 v[41:48], v[199:202], v[195:198], v[41:48]
	v_wmma_f32_16x16x16_f16 v[33:40], v[157:160], v[195:198], v[33:40]
	;; [unrolled: 1-line block ×23, first 2 shown]
.LBB0_136:                              ; %._crit_edge._crit_edge
	.loc	1 26 35 is_stmt 1               ; indirect_matmul.py:26:35
	v_lshrrev_b32_e32 v65, 1, v75
	.loc	1 42 21                         ; indirect_matmul.py:42:21
	v_lshlrev_b32_e32 v0, 2, v0
	s_delay_alu instid0(VALU_DEP_2) | instskip(NEXT) | instid1(VALU_DEP_2)
	.loc	1 26 35                         ; indirect_matmul.py:26:35
	v_and_b32_e32 v65, 56, v65
	.loc	1 42 21                         ; indirect_matmul.py:42:21
	v_lshl_or_b32 v0, s11, 4, v0
	s_delay_alu instid0(VALU_DEP_2)
	.loc	1 26 35                         ; indirect_matmul.py:26:35
	v_or_b32_e32 v67, 1, v65
	v_or_b32_e32 v69, 2, v65
	;; [unrolled: 1-line block ×15, first 2 shown]
	.loc	1 42 48                         ; indirect_matmul.py:42:48
	s_wait_kmcnt 0x0
	v_mul_lo_u32 v65, v65, s0
	v_mul_lo_u32 v67, v67, s0
	;; [unrolled: 1-line block ×8, first 2 shown]
	.loc	1 42 39 is_stmt 0               ; indirect_matmul.py:42:39
	v_ashrrev_i32_e32 v66, 31, v65
	v_ashrrev_i32_e32 v68, 31, v67
	.loc	1 42 48                         ; indirect_matmul.py:42:48
	v_mul_lo_u32 v77, v77, s0
	v_mul_lo_u32 v95, v70, s0
	.loc	1 42 39                         ; indirect_matmul.py:42:39
	v_ashrrev_i32_e32 v70, 31, v69
	v_lshlrev_b64_e32 v[65:66], 2, v[65:66]
	.loc	1 42 21                         ; indirect_matmul.py:42:21
	v_add_co_u32 v0, s1, s2, v0
	.loc	1 42 48                         ; indirect_matmul.py:42:48
	v_mul_lo_u32 v79, v79, s0
	v_mul_lo_u32 v93, v72, s0
	.loc	1 42 39                         ; indirect_matmul.py:42:39
	v_ashrrev_i32_e32 v72, 31, v71
	v_lshlrev_b64_e32 v[67:68], 2, v[67:68]
	.loc	1 42 21                         ; indirect_matmul.py:42:21
	s_wait_alu depctr_va_sdst(0)
	v_add_co_ci_u32_e64 v97, null, s3, 0, s1
	.loc	1 42 48                         ; indirect_matmul.py:42:48
	v_mul_lo_u32 v81, v80, s0
	v_mul_lo_u32 v91, v74, s0
	.loc	1 42 39                         ; indirect_matmul.py:42:39
	v_ashrrev_i32_e32 v74, 31, v73
	v_lshlrev_b64_e32 v[69:70], 2, v[69:70]
	.loc	1 42 48                         ; indirect_matmul.py:42:48
	v_mul_lo_u32 v83, v78, s0
	v_mul_lo_u32 v87, v76, s0
	.loc	1 42 39                         ; indirect_matmul.py:42:39
	v_ashrrev_i32_e32 v76, 31, v75
	v_add_co_u32 v65, vcc_lo, v0, v65
	v_lshlrev_b64_e32 v[71:72], 2, v[71:72]
	v_ashrrev_i32_e32 v78, 31, v77
	s_wait_alu depctr_va_vcc(0)
	v_add_co_ci_u32_e64 v66, null, v97, v66, vcc_lo
	v_add_co_u32 v67, vcc_lo, v0, v67
	v_lshlrev_b64_e32 v[73:74], 2, v[73:74]
	v_ashrrev_i32_e32 v80, 31, v79
	s_wait_alu depctr_va_vcc(0)
	v_add_co_ci_u32_e64 v68, null, v97, v68, vcc_lo
	v_add_co_u32 v69, vcc_lo, v0, v69
	v_lshlrev_b64_e32 v[75:76], 2, v[75:76]
	v_ashrrev_i32_e32 v82, 31, v81
	s_wait_alu depctr_va_vcc(0)
	v_add_co_ci_u32_e64 v70, null, v97, v70, vcc_lo
	v_add_co_u32 v71, vcc_lo, v0, v71
	v_lshlrev_b64_e32 v[77:78], 2, v[77:78]
	v_ashrrev_i32_e32 v84, 31, v83
	s_wait_alu depctr_va_vcc(0)
	v_add_co_ci_u32_e64 v72, null, v97, v72, vcc_lo
	v_add_co_u32 v73, vcc_lo, v0, v73
	v_lshlrev_b64_e32 v[79:80], 2, v[79:80]
	v_ashrrev_i32_e32 v86, 31, v85
	s_wait_alu depctr_va_vcc(0)
	v_add_co_ci_u32_e64 v74, null, v97, v74, vcc_lo
	v_add_co_u32 v75, vcc_lo, v0, v75
	v_lshlrev_b64_e32 v[81:82], 2, v[81:82]
	v_ashrrev_i32_e32 v88, 31, v87
	s_wait_alu depctr_va_vcc(0)
	v_add_co_ci_u32_e64 v76, null, v97, v76, vcc_lo
	v_add_co_u32 v77, vcc_lo, v0, v77
	v_lshlrev_b64_e32 v[83:84], 2, v[83:84]
	v_ashrrev_i32_e32 v90, 31, v89
	s_wait_alu depctr_va_vcc(0)
	v_add_co_ci_u32_e64 v78, null, v97, v78, vcc_lo
	v_add_co_u32 v79, vcc_lo, v0, v79
	v_lshlrev_b64_e32 v[85:86], 2, v[85:86]
	v_ashrrev_i32_e32 v92, 31, v91
	s_wait_alu depctr_va_vcc(0)
	v_add_co_ci_u32_e64 v80, null, v97, v80, vcc_lo
	v_add_co_u32 v81, vcc_lo, v0, v81
	v_lshlrev_b64_e32 v[87:88], 2, v[87:88]
	v_ashrrev_i32_e32 v94, 31, v93
	s_wait_alu depctr_va_vcc(0)
	v_add_co_ci_u32_e64 v82, null, v97, v82, vcc_lo
	v_add_co_u32 v83, vcc_lo, v0, v83
	v_lshlrev_b64_e32 v[89:90], 2, v[89:90]
	v_ashrrev_i32_e32 v96, 31, v95
	s_wait_alu depctr_va_vcc(0)
	v_add_co_ci_u32_e64 v84, null, v97, v84, vcc_lo
	v_add_co_u32 v85, vcc_lo, v0, v85
	v_lshlrev_b64_e32 v[91:92], 2, v[91:92]
	s_wait_alu depctr_va_vcc(0)
	v_add_co_ci_u32_e64 v86, null, v97, v86, vcc_lo
	v_add_co_u32 v87, vcc_lo, v0, v87
	v_lshlrev_b64_e32 v[93:94], 2, v[93:94]
	s_wait_alu depctr_va_vcc(0)
	v_add_co_ci_u32_e64 v88, null, v97, v88, vcc_lo
	;; [unrolled: 4-line block ×3, first 2 shown]
	v_add_co_u32 v91, vcc_lo, v0, v91
	s_wait_alu depctr_va_vcc(0)
	v_add_co_ci_u32_e64 v92, null, v97, v92, vcc_lo
	v_add_co_u32 v93, vcc_lo, v0, v93
	s_wait_alu depctr_va_vcc(0)
	v_add_co_ci_u32_e64 v94, null, v97, v94, vcc_lo
	;; [unrolled: 3-line block ×3, first 2 shown]
	.loc	1 43 23 is_stmt 1               ; indirect_matmul.py:43:23
	s_clause 0x1f
	global_store_b32 v[65:66], v57, off
	global_store_b32 v[67:68], v58, off
	;; [unrolled: 1-line block ×16, first 2 shown]
	global_store_b32 v[65:66], v41, off offset:128
	global_store_b32 v[67:68], v42, off offset:128
	;; [unrolled: 1-line block ×16, first 2 shown]
	s_clause 0x1f
	global_store_b32 v[65:66], v25, off offset:256
	global_store_b32 v[67:68], v26, off offset:256
	;; [unrolled: 1-line block ×32, first 2 shown]
	.loc	1 43 4 is_stmt 0                ; indirect_matmul.py:43:4
	s_nop 0
	s_sendmsg sendmsg(MSG_DEALLOC_VGPRS)
	s_endpgm
.Ltmp1:
	.section	.rodata,"a",@progbits
	.p2align	6, 0x0
	.amdhsa_kernel indirect_matmul_kernel
		.amdhsa_group_segment_fixed_size 0
		.amdhsa_private_segment_fixed_size 0
		.amdhsa_kernarg_size 80
		.amdhsa_user_sgpr_count 2
		.amdhsa_user_sgpr_dispatch_ptr 0
		.amdhsa_user_sgpr_queue_ptr 0
		.amdhsa_user_sgpr_kernarg_segment_ptr 1
		.amdhsa_user_sgpr_dispatch_id 0
		.amdhsa_user_sgpr_private_segment_size 0
		.amdhsa_wavefront_size32 1
		.amdhsa_uses_dynamic_stack 0
		.amdhsa_enable_private_segment 0
		.amdhsa_system_sgpr_workgroup_id_x 1
		.amdhsa_system_sgpr_workgroup_id_y 1
		.amdhsa_system_sgpr_workgroup_id_z 1
		.amdhsa_system_sgpr_workgroup_info 0
		.amdhsa_system_vgpr_workitem_id 0
		.amdhsa_next_free_vgpr 223
		.amdhsa_next_free_sgpr 48
		.amdhsa_reserve_vcc 1
		.amdhsa_float_round_mode_32 0
		.amdhsa_float_round_mode_16_64 0
		.amdhsa_float_denorm_mode_32 3
		.amdhsa_float_denorm_mode_16_64 3
		.amdhsa_fp16_overflow 0
		.amdhsa_workgroup_processor_mode 1
		.amdhsa_memory_ordered 1
		.amdhsa_forward_progress 1
		.amdhsa_inst_pref_size 137
		.amdhsa_round_robin_scheduling 0
		.amdhsa_exception_fp_ieee_invalid_op 0
		.amdhsa_exception_fp_denorm_src 0
		.amdhsa_exception_fp_ieee_div_zero 0
		.amdhsa_exception_fp_ieee_overflow 0
		.amdhsa_exception_fp_ieee_underflow 0
		.amdhsa_exception_fp_ieee_inexact 0
		.amdhsa_exception_int_div_zero 0
	.end_amdhsa_kernel
	.text
.Lfunc_end0:
	.size	indirect_matmul_kernel, .Lfunc_end0-indirect_matmul_kernel
	.cfi_endproc
                                        ; -- End function
	.set indirect_matmul_kernel.num_vgpr, 223
	.set indirect_matmul_kernel.num_agpr, 0
	.set indirect_matmul_kernel.numbered_sgpr, 48
	.set indirect_matmul_kernel.num_named_barrier, 0
	.set indirect_matmul_kernel.private_seg_size, 0
	.set indirect_matmul_kernel.uses_vcc, 1
	.set indirect_matmul_kernel.uses_flat_scratch, 0
	.set indirect_matmul_kernel.has_dyn_sized_stack, 0
	.set indirect_matmul_kernel.has_recursion, 0
	.set indirect_matmul_kernel.has_indirect_call, 0
	.section	.AMDGPU.csdata,"",@progbits
; Kernel info:
; codeLenInByte = 17532
; TotalNumSgprs: 50
; NumVgprs: 223
; ScratchSize: 0
; MemoryBound: 0
; FloatMode: 240
; IeeeMode: 1
; LDSByteSize: 0 bytes/workgroup (compile time only)
; SGPRBlocks: 0
; VGPRBlocks: 27
; NumSGPRsForWavesPerEU: 50
; NumVGPRsForWavesPerEU: 223
; Occupancy: 6
; WaveLimiterHint : 1
; COMPUTE_PGM_RSRC2:SCRATCH_EN: 0
; COMPUTE_PGM_RSRC2:USER_SGPR: 2
; COMPUTE_PGM_RSRC2:TRAP_HANDLER: 0
; COMPUTE_PGM_RSRC2:TGID_X_EN: 1
; COMPUTE_PGM_RSRC2:TGID_Y_EN: 1
; COMPUTE_PGM_RSRC2:TGID_Z_EN: 1
; COMPUTE_PGM_RSRC2:TIDIG_COMP_CNT: 0
	.text
	.p2alignl 7, 3214868480
	.fill 96, 4, 3214868480
	.section	.AMDGPU.gpr_maximums,"",@progbits
	.set amdgpu.max_num_vgpr, 0
	.set amdgpu.max_num_agpr, 0
	.set amdgpu.max_num_sgpr, 0
	.set amdgpu.max_num_named_barrier, 0
	.text
	.section	.debug_abbrev,"",@progbits
	.byte	1                               ; Abbreviation Code
	.byte	17                              ; DW_TAG_compile_unit
	.byte	0                               ; DW_CHILDREN_no
	.byte	37                              ; DW_AT_producer
	.byte	14                              ; DW_FORM_strp
	.byte	19                              ; DW_AT_language
	.byte	5                               ; DW_FORM_data2
	.byte	3                               ; DW_AT_name
	.byte	14                              ; DW_FORM_strp
	.byte	16                              ; DW_AT_stmt_list
	.byte	23                              ; DW_FORM_sec_offset
	.byte	27                              ; DW_AT_comp_dir
	.byte	14                              ; DW_FORM_strp
	.byte	17                              ; DW_AT_low_pc
	.byte	1                               ; DW_FORM_addr
	.byte	18                              ; DW_AT_high_pc
	.byte	6                               ; DW_FORM_data4
	.byte	0                               ; EOM(1)
	.byte	0                               ; EOM(2)
	;; [unrolled: 1-line block ×3, first 2 shown]
	.section	.debug_info,"",@progbits
.Lcu_begin0:
	.long	.Ldebug_info_end0-.Ldebug_info_start0 ; Length of Unit
.Ldebug_info_start0:
	.short	4                               ; DWARF version number
	.long	.debug_abbrev                   ; Offset Into Abbrev. Section
	.byte	8                               ; Address Size (in bytes)
	.byte	1                               ; Abbrev [1] 0xb:0x1f DW_TAG_compile_unit
	.long	.Linfo_string0                  ; DW_AT_producer
	.short	2                               ; DW_AT_language
	.long	.Linfo_string1                  ; DW_AT_name
	.long	.Lline_table_start0             ; DW_AT_stmt_list
	.long	.Linfo_string2                  ; DW_AT_comp_dir
	.quad	.Lfunc_begin0                   ; DW_AT_low_pc
	.long	.Lfunc_end0-.Lfunc_begin0       ; DW_AT_high_pc
.Ldebug_info_end0:
	.section	.debug_str,"MS",@progbits,1
.Linfo_string0:
	.asciz	"triton"                        ; string offset=0
.Linfo_string1:
	.asciz	"indirect_matmul.py"            ; string offset=7
.Linfo_string2:
	.asciz	"/root/src/amdgpu-assembly/repos/triton-lang__triton-aot" ; string offset=26
	.section	".note.GNU-stack","",@progbits
	.amdgpu_metadata
---
amdhsa.kernels:
  - .args:
      - .address_space:  global
        .offset:         0
        .size:           8
        .value_kind:     global_buffer
      - .offset:         8
        .size:           4
        .value_kind:     by_value
      - .address_space:  global
        .offset:         16
        .size:           8
        .value_kind:     global_buffer
      - .offset:         24
        .size:           4
        .value_kind:     by_value
      - .address_space:  global
        .offset:         32
        .size:           8
        .value_kind:     global_buffer
      - .offset:         40
        .size:           4
        .value_kind:     by_value
      - .address_space:  global
        .offset:         48
        .size:           8
        .value_kind:     global_buffer
      - .offset:         56
        .size:           4
        .value_kind:     by_value
      - .address_space:  global
        .offset:         64
        .size:           8
        .value_kind:     global_buffer
      - .address_space:  global
        .offset:         72
        .size:           8
        .value_kind:     global_buffer
    .group_segment_fixed_size: 0
    .kernarg_segment_align: 8
    .kernarg_segment_size: 80
    .max_flat_workgroup_size: 256
    .name:           indirect_matmul_kernel
    .private_segment_fixed_size: 0
    .sgpr_count:     50
    .sgpr_spill_count: 0
    .symbol:         indirect_matmul_kernel.kd
    .uniform_work_group_size: 1
    .uses_dynamic_stack: false
    .vgpr_count:     223
    .vgpr_spill_count: 0
    .wavefront_size: 32
    .workgroup_processor_mode: 1
amdhsa.target:   amdgcn-amd-amdhsa--gfx1201
amdhsa.version:
  - 1
  - 2
...

	.end_amdgpu_metadata
	.section	.debug_line,"",@progbits
.Lline_table_start0:
